;; amdgpu-corpus repo=ROCm/rocFFT kind=compiled arch=gfx906 opt=O3
	.text
	.amdgcn_target "amdgcn-amd-amdhsa--gfx906"
	.amdhsa_code_object_version 6
	.protected	fft_rtc_fwd_len1404_factors_2_2_3_13_3_3_wgs_117_tpt_117_halfLds_half_ip_CI_sbrr_dirReg ; -- Begin function fft_rtc_fwd_len1404_factors_2_2_3_13_3_3_wgs_117_tpt_117_halfLds_half_ip_CI_sbrr_dirReg
	.globl	fft_rtc_fwd_len1404_factors_2_2_3_13_3_3_wgs_117_tpt_117_halfLds_half_ip_CI_sbrr_dirReg
	.p2align	8
	.type	fft_rtc_fwd_len1404_factors_2_2_3_13_3_3_wgs_117_tpt_117_halfLds_half_ip_CI_sbrr_dirReg,@function
fft_rtc_fwd_len1404_factors_2_2_3_13_3_3_wgs_117_tpt_117_halfLds_half_ip_CI_sbrr_dirReg: ; @fft_rtc_fwd_len1404_factors_2_2_3_13_3_3_wgs_117_tpt_117_halfLds_half_ip_CI_sbrr_dirReg
; %bb.0:
	s_load_dwordx2 s[14:15], s[4:5], 0x18
	s_load_dwordx4 s[8:11], s[4:5], 0x0
	s_load_dwordx2 s[12:13], s[4:5], 0x50
	v_mul_u32_u24_e32 v1, 0x231, v0
	v_add_u32_sdwa v5, s6, v1 dst_sel:DWORD dst_unused:UNUSED_PAD src0_sel:DWORD src1_sel:WORD_1
	s_waitcnt lgkmcnt(0)
	s_load_dwordx2 s[2:3], s[14:15], 0x0
	v_cmp_lt_u64_e64 s[0:1], s[10:11], 2
	v_mov_b32_e32 v3, 0
	v_mov_b32_e32 v1, 0
	;; [unrolled: 1-line block ×3, first 2 shown]
	s_and_b64 vcc, exec, s[0:1]
	v_mov_b32_e32 v2, 0
	s_cbranch_vccnz .LBB0_8
; %bb.1:
	s_load_dwordx2 s[0:1], s[4:5], 0x10
	s_add_u32 s6, s14, 8
	s_addc_u32 s7, s15, 0
	v_mov_b32_e32 v1, 0
	v_mov_b32_e32 v2, 0
	s_waitcnt lgkmcnt(0)
	s_add_u32 s16, s0, 8
	s_addc_u32 s17, s1, 0
	s_mov_b64 s[18:19], 1
.LBB0_2:                                ; =>This Inner Loop Header: Depth=1
	s_load_dwordx2 s[20:21], s[16:17], 0x0
                                        ; implicit-def: $vgpr7_vgpr8
	s_waitcnt lgkmcnt(0)
	v_or_b32_e32 v4, s21, v6
	v_cmp_ne_u64_e32 vcc, 0, v[3:4]
	s_and_saveexec_b64 s[0:1], vcc
	s_xor_b64 s[22:23], exec, s[0:1]
	s_cbranch_execz .LBB0_4
; %bb.3:                                ;   in Loop: Header=BB0_2 Depth=1
	v_cvt_f32_u32_e32 v4, s20
	v_cvt_f32_u32_e32 v7, s21
	s_sub_u32 s0, 0, s20
	s_subb_u32 s1, 0, s21
	v_mac_f32_e32 v4, 0x4f800000, v7
	v_rcp_f32_e32 v4, v4
	v_mul_f32_e32 v4, 0x5f7ffffc, v4
	v_mul_f32_e32 v7, 0x2f800000, v4
	v_trunc_f32_e32 v7, v7
	v_mac_f32_e32 v4, 0xcf800000, v7
	v_cvt_u32_f32_e32 v7, v7
	v_cvt_u32_f32_e32 v4, v4
	v_mul_lo_u32 v8, s0, v7
	v_mul_hi_u32 v9, s0, v4
	v_mul_lo_u32 v11, s1, v4
	v_mul_lo_u32 v10, s0, v4
	v_add_u32_e32 v8, v9, v8
	v_add_u32_e32 v8, v8, v11
	v_mul_hi_u32 v9, v4, v10
	v_mul_lo_u32 v11, v4, v8
	v_mul_hi_u32 v13, v4, v8
	v_mul_hi_u32 v12, v7, v10
	v_mul_lo_u32 v10, v7, v10
	v_mul_hi_u32 v14, v7, v8
	v_add_co_u32_e32 v9, vcc, v9, v11
	v_addc_co_u32_e32 v11, vcc, 0, v13, vcc
	v_mul_lo_u32 v8, v7, v8
	v_add_co_u32_e32 v9, vcc, v9, v10
	v_addc_co_u32_e32 v9, vcc, v11, v12, vcc
	v_addc_co_u32_e32 v10, vcc, 0, v14, vcc
	v_add_co_u32_e32 v8, vcc, v9, v8
	v_addc_co_u32_e32 v9, vcc, 0, v10, vcc
	v_add_co_u32_e32 v4, vcc, v4, v8
	v_addc_co_u32_e32 v7, vcc, v7, v9, vcc
	v_mul_lo_u32 v8, s0, v7
	v_mul_hi_u32 v9, s0, v4
	v_mul_lo_u32 v10, s1, v4
	v_mul_lo_u32 v11, s0, v4
	v_add_u32_e32 v8, v9, v8
	v_add_u32_e32 v8, v8, v10
	v_mul_lo_u32 v12, v4, v8
	v_mul_hi_u32 v13, v4, v11
	v_mul_hi_u32 v14, v4, v8
	;; [unrolled: 1-line block ×3, first 2 shown]
	v_mul_lo_u32 v11, v7, v11
	v_mul_hi_u32 v9, v7, v8
	v_add_co_u32_e32 v12, vcc, v13, v12
	v_addc_co_u32_e32 v13, vcc, 0, v14, vcc
	v_mul_lo_u32 v8, v7, v8
	v_add_co_u32_e32 v11, vcc, v12, v11
	v_addc_co_u32_e32 v10, vcc, v13, v10, vcc
	v_addc_co_u32_e32 v9, vcc, 0, v9, vcc
	v_add_co_u32_e32 v8, vcc, v10, v8
	v_addc_co_u32_e32 v9, vcc, 0, v9, vcc
	v_add_co_u32_e32 v4, vcc, v4, v8
	v_addc_co_u32_e32 v9, vcc, v7, v9, vcc
	v_mad_u64_u32 v[7:8], s[0:1], v5, v9, 0
	v_mul_hi_u32 v10, v5, v4
	v_add_co_u32_e32 v11, vcc, v10, v7
	v_addc_co_u32_e32 v12, vcc, 0, v8, vcc
	v_mad_u64_u32 v[7:8], s[0:1], v6, v4, 0
	v_mad_u64_u32 v[9:10], s[0:1], v6, v9, 0
	v_add_co_u32_e32 v4, vcc, v11, v7
	v_addc_co_u32_e32 v4, vcc, v12, v8, vcc
	v_addc_co_u32_e32 v7, vcc, 0, v10, vcc
	v_add_co_u32_e32 v4, vcc, v4, v9
	v_addc_co_u32_e32 v9, vcc, 0, v7, vcc
	v_mul_lo_u32 v10, s21, v4
	v_mul_lo_u32 v11, s20, v9
	v_mad_u64_u32 v[7:8], s[0:1], s20, v4, 0
	v_add3_u32 v8, v8, v11, v10
	v_sub_u32_e32 v10, v6, v8
	v_mov_b32_e32 v11, s21
	v_sub_co_u32_e32 v7, vcc, v5, v7
	v_subb_co_u32_e64 v10, s[0:1], v10, v11, vcc
	v_subrev_co_u32_e64 v11, s[0:1], s20, v7
	v_subbrev_co_u32_e64 v10, s[0:1], 0, v10, s[0:1]
	v_cmp_le_u32_e64 s[0:1], s21, v10
	v_cndmask_b32_e64 v12, 0, -1, s[0:1]
	v_cmp_le_u32_e64 s[0:1], s20, v11
	v_cndmask_b32_e64 v11, 0, -1, s[0:1]
	v_cmp_eq_u32_e64 s[0:1], s21, v10
	v_cndmask_b32_e64 v10, v12, v11, s[0:1]
	v_add_co_u32_e64 v11, s[0:1], 2, v4
	v_addc_co_u32_e64 v12, s[0:1], 0, v9, s[0:1]
	v_add_co_u32_e64 v13, s[0:1], 1, v4
	v_addc_co_u32_e64 v14, s[0:1], 0, v9, s[0:1]
	v_subb_co_u32_e32 v8, vcc, v6, v8, vcc
	v_cmp_ne_u32_e64 s[0:1], 0, v10
	v_cmp_le_u32_e32 vcc, s21, v8
	v_cndmask_b32_e64 v10, v14, v12, s[0:1]
	v_cndmask_b32_e64 v12, 0, -1, vcc
	v_cmp_le_u32_e32 vcc, s20, v7
	v_cndmask_b32_e64 v7, 0, -1, vcc
	v_cmp_eq_u32_e32 vcc, s21, v8
	v_cndmask_b32_e32 v7, v12, v7, vcc
	v_cmp_ne_u32_e32 vcc, 0, v7
	v_cndmask_b32_e64 v7, v13, v11, s[0:1]
	v_cndmask_b32_e32 v8, v9, v10, vcc
	v_cndmask_b32_e32 v7, v4, v7, vcc
.LBB0_4:                                ;   in Loop: Header=BB0_2 Depth=1
	s_andn2_saveexec_b64 s[0:1], s[22:23]
	s_cbranch_execz .LBB0_6
; %bb.5:                                ;   in Loop: Header=BB0_2 Depth=1
	v_cvt_f32_u32_e32 v4, s20
	s_sub_i32 s22, 0, s20
	v_rcp_iflag_f32_e32 v4, v4
	v_mul_f32_e32 v4, 0x4f7ffffe, v4
	v_cvt_u32_f32_e32 v4, v4
	v_mul_lo_u32 v7, s22, v4
	v_mul_hi_u32 v7, v4, v7
	v_add_u32_e32 v4, v4, v7
	v_mul_hi_u32 v4, v5, v4
	v_mul_lo_u32 v7, v4, s20
	v_add_u32_e32 v8, 1, v4
	v_sub_u32_e32 v7, v5, v7
	v_subrev_u32_e32 v9, s20, v7
	v_cmp_le_u32_e32 vcc, s20, v7
	v_cndmask_b32_e32 v7, v7, v9, vcc
	v_cndmask_b32_e32 v4, v4, v8, vcc
	v_add_u32_e32 v8, 1, v4
	v_cmp_le_u32_e32 vcc, s20, v7
	v_cndmask_b32_e32 v7, v4, v8, vcc
	v_mov_b32_e32 v8, v3
.LBB0_6:                                ;   in Loop: Header=BB0_2 Depth=1
	s_or_b64 exec, exec, s[0:1]
	v_mul_lo_u32 v4, v8, s20
	v_mul_lo_u32 v11, v7, s21
	v_mad_u64_u32 v[9:10], s[0:1], v7, s20, 0
	s_load_dwordx2 s[0:1], s[6:7], 0x0
	s_add_u32 s18, s18, 1
	v_add3_u32 v4, v10, v11, v4
	v_sub_co_u32_e32 v5, vcc, v5, v9
	v_subb_co_u32_e32 v4, vcc, v6, v4, vcc
	s_waitcnt lgkmcnt(0)
	v_mul_lo_u32 v4, s0, v4
	v_mul_lo_u32 v6, s1, v5
	v_mad_u64_u32 v[1:2], s[0:1], s0, v5, v[1:2]
	s_addc_u32 s19, s19, 0
	s_add_u32 s6, s6, 8
	v_add3_u32 v2, v6, v2, v4
	v_mov_b32_e32 v4, s10
	v_mov_b32_e32 v5, s11
	s_addc_u32 s7, s7, 0
	v_cmp_ge_u64_e32 vcc, s[18:19], v[4:5]
	s_add_u32 s16, s16, 8
	s_addc_u32 s17, s17, 0
	s_cbranch_vccnz .LBB0_9
; %bb.7:                                ;   in Loop: Header=BB0_2 Depth=1
	v_mov_b32_e32 v5, v7
	v_mov_b32_e32 v6, v8
	s_branch .LBB0_2
.LBB0_8:
	v_mov_b32_e32 v8, v6
	v_mov_b32_e32 v7, v5
.LBB0_9:
	s_lshl_b64 s[0:1], s[10:11], 3
	s_add_u32 s0, s14, s0
	s_addc_u32 s1, s15, s1
	s_load_dwordx2 s[6:7], s[0:1], 0x0
	s_load_dwordx2 s[10:11], s[4:5], 0x20
                                        ; implicit-def: $vgpr11
                                        ; implicit-def: $vgpr12
                                        ; implicit-def: $vgpr16
	s_waitcnt lgkmcnt(0)
	v_mad_u64_u32 v[1:2], s[0:1], s6, v7, v[1:2]
	s_mov_b32 s0, 0x2302303
	v_mul_lo_u32 v3, s6, v8
	v_mul_lo_u32 v4, s7, v7
	v_mul_hi_u32 v5, v0, s0
	v_cmp_gt_u64_e32 vcc, s[10:11], v[7:8]
	v_cmp_le_u64_e64 s[0:1], s[10:11], v[7:8]
	v_add3_u32 v2, v4, v2, v3
	v_mul_u32_u24_e32 v3, 0x75, v5
	v_sub_u32_e32 v10, v0, v3
                                        ; implicit-def: $sgpr6
                                        ; implicit-def: $vgpr7
                                        ; implicit-def: $vgpr5
	s_and_saveexec_b64 s[4:5], s[0:1]
	s_xor_b64 s[0:1], exec, s[4:5]
; %bb.10:
	v_add_u32_e32 v7, 0x75, v10
	v_add_u32_e32 v11, 0xea, v10
	;; [unrolled: 1-line block ×5, first 2 shown]
	s_mov_b32 s6, 0
; %bb.11:
	s_or_saveexec_b64 s[4:5], s[0:1]
	v_lshlrev_b64 v[0:1], 2, v[1:2]
	v_mov_b32_e32 v3, s6
	v_mov_b32_e32 v19, s6
	;; [unrolled: 1-line block ×6, first 2 shown]
                                        ; implicit-def: $vgpr14
                                        ; implicit-def: $vgpr8
                                        ; implicit-def: $vgpr26
                                        ; implicit-def: $vgpr6
                                        ; implicit-def: $vgpr25
                                        ; implicit-def: $vgpr4
                                        ; implicit-def: $vgpr24
                                        ; implicit-def: $vgpr2
                                        ; implicit-def: $vgpr22
                                        ; implicit-def: $vgpr9
                                        ; implicit-def: $vgpr21
                                        ; implicit-def: $vgpr13
	s_xor_b64 exec, exec, s[4:5]
	s_cbranch_execz .LBB0_13
; %bb.12:
	v_mad_u64_u32 v[2:3], s[0:1], s2, v10, 0
	v_add_u32_e32 v7, 0x2be, v10
	v_mov_b32_e32 v6, s13
	v_mad_u64_u32 v[3:4], s[0:1], s3, v10, v[3:4]
	v_mad_u64_u32 v[4:5], s[0:1], s2, v7, 0
	v_add_co_u32_e64 v37, s[0:1], s12, v0
	v_addc_co_u32_e64 v38, s[0:1], v6, v1, s[0:1]
	v_mad_u64_u32 v[5:6], s[0:1], s3, v7, v[5:6]
	v_add_u32_e32 v7, 0x75, v10
	v_mad_u64_u32 v[8:9], s[0:1], s2, v7, 0
	v_lshlrev_b64 v[2:3], 2, v[2:3]
	v_add_u32_e32 v11, 0x333, v10
	v_add_co_u32_e64 v13, s[0:1], v37, v2
	v_addc_co_u32_e64 v14, s[0:1], v38, v3, s[0:1]
	v_lshlrev_b64 v[2:3], 2, v[4:5]
	v_mov_b32_e32 v4, v9
	v_mad_u64_u32 v[4:5], s[0:1], s3, v7, v[4:5]
	v_mad_u64_u32 v[5:6], s[0:1], s2, v11, 0
	v_add_co_u32_e64 v15, s[0:1], v37, v2
	v_mov_b32_e32 v9, v4
	v_mov_b32_e32 v4, v6
	v_addc_co_u32_e64 v16, s[0:1], v38, v3, s[0:1]
	v_lshlrev_b64 v[2:3], 2, v[8:9]
	v_mad_u64_u32 v[8:9], s[0:1], s3, v11, v[4:5]
	v_add_u32_e32 v11, 0xea, v10
	v_mad_u64_u32 v[17:18], s[0:1], s2, v11, 0
	v_add_co_u32_e64 v20, s[0:1], v37, v2
	v_mov_b32_e32 v6, v8
	v_mov_b32_e32 v4, v18
	v_addc_co_u32_e64 v21, s[0:1], v38, v3, s[0:1]
	v_lshlrev_b64 v[2:3], 2, v[5:6]
	v_mad_u64_u32 v[4:5], s[0:1], s3, v11, v[4:5]
	v_add_u32_e32 v8, 0x3a8, v10
	v_mad_u64_u32 v[5:6], s[0:1], s2, v8, 0
	v_add_co_u32_e64 v22, s[0:1], v37, v2
	v_mov_b32_e32 v18, v4
	v_mov_b32_e32 v4, v6
	v_add_u32_e32 v12, 0x15f, v10
	v_addc_co_u32_e64 v23, s[0:1], v38, v3, s[0:1]
	v_lshlrev_b64 v[2:3], 2, v[17:18]
	v_mad_u64_u32 v[8:9], s[0:1], s3, v8, v[4:5]
	v_mad_u64_u32 v[17:18], s[0:1], s2, v12, 0
	v_add_co_u32_e64 v24, s[0:1], v37, v2
	v_mov_b32_e32 v6, v8
	v_mov_b32_e32 v4, v18
	v_addc_co_u32_e64 v25, s[0:1], v38, v3, s[0:1]
	v_lshlrev_b64 v[2:3], 2, v[5:6]
	v_mad_u64_u32 v[4:5], s[0:1], s3, v12, v[4:5]
	v_add_u32_e32 v8, 0x41d, v10
	v_mad_u64_u32 v[5:6], s[0:1], s2, v8, 0
	v_add_co_u32_e64 v26, s[0:1], v37, v2
	v_mov_b32_e32 v18, v4
	v_mov_b32_e32 v4, v6
	v_addc_co_u32_e64 v27, s[0:1], v38, v3, s[0:1]
	v_mad_u64_u32 v[8:9], s[0:1], s3, v8, v[4:5]
	v_lshlrev_b64 v[2:3], 2, v[17:18]
	v_add_u32_e32 v39, 0x492, v10
	v_add_co_u32_e64 v28, s[0:1], v37, v2
	v_mov_b32_e32 v6, v8
	v_addc_co_u32_e64 v29, s[0:1], v38, v3, s[0:1]
	v_lshlrev_b64 v[2:3], 2, v[5:6]
	v_add_u32_e32 v5, 0x1d4, v10
	v_mad_u64_u32 v[30:31], s[0:1], s2, v5, 0
	v_add_co_u32_e64 v32, s[0:1], v37, v2
	v_mov_b32_e32 v2, v31
	v_addc_co_u32_e64 v33, s[0:1], v38, v3, s[0:1]
	v_mad_u64_u32 v[34:35], s[0:1], s3, v5, v[2:3]
	v_mad_u64_u32 v[35:36], s[0:1], s2, v39, 0
	v_mov_b32_e32 v31, v34
	global_load_dword v3, v[13:14], off
	global_load_dword v8, v[15:16], off
	;; [unrolled: 1-line block ×8, first 2 shown]
	v_mov_b32_e32 v9, v36
	v_lshlrev_b64 v[13:14], 2, v[30:31]
	v_mad_u64_u32 v[15:16], s[0:1], s3, v39, v[9:10]
	v_add_co_u32_e64 v13, s[0:1], v37, v13
	v_add_u32_e32 v16, 0x249, v10
	v_addc_co_u32_e64 v14, s[0:1], v38, v14, s[0:1]
	v_mad_u64_u32 v[22:23], s[0:1], s2, v16, 0
	v_mov_b32_e32 v36, v15
	v_lshlrev_b64 v[20:21], 2, v[35:36]
	v_mov_b32_e32 v9, v23
	v_add_co_u32_e64 v24, s[0:1], v37, v20
	v_addc_co_u32_e64 v25, s[0:1], v38, v21, s[0:1]
	v_mad_u64_u32 v[26:27], s[0:1], s3, v16, v[9:10]
	v_add_u32_e32 v21, 0x507, v10
	v_mad_u64_u32 v[27:28], s[0:1], s2, v21, 0
	v_mov_b32_e32 v23, v26
	global_load_dword v20, v[13:14], off
	global_load_dword v9, v[24:25], off
	v_mov_b32_e32 v15, v28
	v_lshlrev_b64 v[13:14], 2, v[22:23]
	v_mad_u64_u32 v[21:22], s[0:1], s3, v21, v[15:16]
	v_add_co_u32_e64 v24, s[0:1], v37, v13
	v_mov_b32_e32 v28, v21
	v_addc_co_u32_e64 v25, s[0:1], v38, v14, s[0:1]
	v_lshlrev_b64 v[13:14], 2, v[27:28]
	v_add_co_u32_e64 v21, s[0:1], v37, v13
	v_addc_co_u32_e64 v22, s[0:1], v38, v14, s[0:1]
	global_load_dword v13, v[21:22], off
	global_load_dword v23, v[24:25], off
	s_waitcnt vmcnt(10)
	v_lshrrev_b32_e32 v14, 16, v8
	s_waitcnt vmcnt(8)
	v_lshrrev_b32_e32 v26, 16, v6
	;; [unrolled: 2-line block ×6, first 2 shown]
.LBB0_13:
	s_or_b64 exec, exec, s[4:5]
	v_sub_f16_e32 v8, v3, v8
	v_lshrrev_b32_e32 v15, 16, v3
	v_fma_f16 v3, v3, 2.0, -v8
	v_sub_f16_e32 v6, v19, v6
	v_sub_f16_e32 v27, v15, v14
	v_fma_f16 v14, v19, 2.0, -v6
	v_sub_f16_e32 v4, v18, v4
	v_pack_b32_f16 v3, v3, v8
	v_lshl_add_u32 v31, v10, 2, 0
	v_fma_f16 v28, v15, 2.0, -v27
	v_fma_f16 v15, v18, 2.0, -v4
	v_sub_f16_e32 v2, v17, v2
	v_sub_f16_e32 v30, v20, v9
	ds_write_b32 v31, v3
	v_pack_b32_f16 v3, v14, v6
	v_lshl_add_u32 v8, v7, 2, 0
	v_fma_f16 v29, v17, 2.0, -v2
	v_fma_f16 v32, v20, 2.0, -v30
	s_waitcnt vmcnt(0)
	v_sub_f16_e32 v13, v23, v13
	ds_write_b32 v8, v3
	v_pack_b32_f16 v3, v15, v4
	v_lshl_add_u32 v9, v11, 2, 0
	v_lshrrev_b32_e32 v19, 16, v19
	v_fma_f16 v6, v23, 2.0, -v13
	ds_write_b32 v9, v3
	v_lshl_add_u32 v3, v12, 2, 0
	v_pack_b32_f16 v2, v29, v2
	v_pack_b32_f16 v4, v32, v30
	v_lshl_add_u32 v14, v5, 2, 0
	v_sub_f16_e32 v26, v19, v26
	ds_write_b32 v3, v2
	v_lshlrev_b32_e32 v2, 1, v10
	ds_write_b32 v14, v4
	v_lshl_add_u32 v29, v16, 2, 0
	v_pack_b32_f16 v4, v6, v13
	v_lshlrev_b32_e32 v15, 1, v5
	v_lshlrev_b32_e32 v5, 1, v11
	v_fma_f16 v19, v19, 2.0, -v26
	ds_write_b32 v29, v4
	v_lshlrev_b32_e32 v4, 1, v7
	v_pack_b32_f16 v27, v28, v27
	v_lshlrev_b32_e32 v28, 1, v16
	v_sub_u32_e32 v13, v31, v2
	v_sub_u32_e32 v42, v9, v5
	v_lshlrev_b32_e32 v6, 1, v12
	v_pack_b32_f16 v19, v19, v26
	v_lshrrev_b32_e32 v18, 16, v18
	s_waitcnt lgkmcnt(0)
	s_barrier
	v_sub_u32_e32 v32, v8, v4
	v_sub_u32_e32 v30, v3, v6
	;; [unrolled: 1-line block ×3, first 2 shown]
	ds_read_u16 v34, v13
	ds_read_u16 v35, v13 offset:1404
	ds_read_u16 v36, v13 offset:1638
	;; [unrolled: 1-line block ×5, first 2 shown]
	v_sub_u32_e32 v40, v29, v28
	ds_read_u16 v41, v42
	ds_read_u16 v43, v30
	;; [unrolled: 1-line block ×5, first 2 shown]
	ds_read_u16 v47, v13 offset:2574
	s_waitcnt lgkmcnt(0)
	s_barrier
	ds_write_b32 v31, v27
	ds_write_b32 v8, v19
	v_sub_f16_e32 v19, v18, v25
	v_fma_f16 v18, v18, 2.0, -v19
	v_pack_b32_f16 v18, v18, v19
	v_lshrrev_b32_e32 v17, 16, v17
	ds_write_b32 v9, v18
	v_sub_f16_e32 v18, v17, v24
	v_fma_f16 v17, v17, 2.0, -v18
	v_pack_b32_f16 v17, v17, v18
	ds_write_b32 v3, v17
	v_lshrrev_b32_e32 v17, 16, v20
	v_sub_f16_e32 v18, v17, v22
	v_fma_f16 v17, v17, 2.0, -v18
	v_pack_b32_f16 v17, v17, v18
	ds_write_b32 v14, v17
	v_lshrrev_b32_e32 v17, 16, v23
	v_sub_f16_e32 v18, v17, v21
	v_fma_f16 v17, v17, 2.0, -v18
	v_pack_b32_f16 v17, v17, v18
	ds_write_b32 v29, v17
	v_and_b32_e32 v17, 1, v7
	v_lshlrev_b32_e32 v18, 2, v17
	s_waitcnt lgkmcnt(0)
	s_barrier
	global_load_dword v18, v18, s[8:9]
	v_and_b32_e32 v19, 1, v12
	v_lshlrev_b32_e32 v20, 2, v19
	global_load_dword v20, v20, s[8:9]
	v_and_b32_e32 v16, 1, v16
	v_and_b32_e32 v22, 1, v10
	v_lshlrev_b32_e32 v21, 2, v16
	global_load_dword v21, v21, s[8:9]
	v_lshlrev_b32_e32 v23, 2, v22
	global_load_dword v23, v23, s[8:9]
	ds_read_u16 v24, v13 offset:1638
	ds_read_u16 v25, v13 offset:1872
	;; [unrolled: 1-line block ×5, first 2 shown]
	ds_read_u16 v31, v32
	ds_read_u16 v48, v13 offset:1404
	s_movk_i32 s0, 0xfc
	v_and_b32_e32 v55, 3, v12
	s_movk_i32 s6, 0x3aee
	s_mov_b32 s7, 0xbaee
	s_waitcnt vmcnt(3) lgkmcnt(6)
	v_mul_f16_sdwa v49, v24, v18 dst_sel:DWORD dst_unused:UNUSED_PAD src0_sel:DWORD src1_sel:WORD_1
	v_fma_f16 v49, v36, v18, -v49
	v_mul_f16_sdwa v36, v36, v18 dst_sel:DWORD dst_unused:UNUSED_PAD src0_sel:DWORD src1_sel:WORD_1
	v_fma_f16 v18, v24, v18, v36
	s_waitcnt vmcnt(2) lgkmcnt(4)
	v_mul_f16_sdwa v24, v26, v20 dst_sel:DWORD dst_unused:UNUSED_PAD src0_sel:DWORD src1_sel:WORD_1
	v_fma_f16 v24, v38, v20, -v24
	v_mul_f16_sdwa v36, v38, v20 dst_sel:DWORD dst_unused:UNUSED_PAD src0_sel:DWORD src1_sel:WORD_1
	v_fma_f16 v20, v26, v20, v36
	ds_read_u16 v26, v13
	s_waitcnt vmcnt(0)
	v_mul_f16_sdwa v38, v25, v23 dst_sel:DWORD dst_unused:UNUSED_PAD src0_sel:DWORD src1_sel:WORD_1
	v_fma_f16 v38, v37, v23, -v38
	v_mul_f16_sdwa v37, v37, v23 dst_sel:DWORD dst_unused:UNUSED_PAD src0_sel:DWORD src1_sel:WORD_1
	s_waitcnt lgkmcnt(1)
	v_mul_f16_sdwa v36, v48, v23 dst_sel:DWORD dst_unused:UNUSED_PAD src0_sel:DWORD src1_sel:WORD_1
	v_fma_f16 v25, v25, v23, v37
	v_mul_f16_sdwa v37, v27, v23 dst_sel:DWORD dst_unused:UNUSED_PAD src0_sel:DWORD src1_sel:WORD_1
	v_fma_f16 v36, v35, v23, -v36
	v_mul_f16_sdwa v35, v35, v23 dst_sel:DWORD dst_unused:UNUSED_PAD src0_sel:DWORD src1_sel:WORD_1
	v_fma_f16 v37, v39, v23, -v37
	v_mul_f16_sdwa v39, v39, v23 dst_sel:DWORD dst_unused:UNUSED_PAD src0_sel:DWORD src1_sel:WORD_1
	v_fma_f16 v35, v48, v23, v35
	v_fma_f16 v23, v27, v23, v39
	v_mul_f16_sdwa v27, v29, v21 dst_sel:DWORD dst_unused:UNUSED_PAD src0_sel:DWORD src1_sel:WORD_1
	v_mul_f16_sdwa v39, v47, v21 dst_sel:DWORD dst_unused:UNUSED_PAD src0_sel:DWORD src1_sel:WORD_1
	v_fma_f16 v27, v47, v21, -v27
	v_fma_f16 v21, v29, v21, v39
	v_sub_f16_e32 v29, v34, v36
	v_and_or_b32 v48, v2, s0, v22
	v_fma_f16 v34, v34, 2.0, -v29
	v_lshl_add_u32 v48, v48, 1, 0
	s_movk_i32 s0, 0x1fc
	ds_read_u16 v36, v42
	ds_read_u16 v39, v30
	;; [unrolled: 1-line block ×4, first 2 shown]
	s_waitcnt lgkmcnt(0)
	s_barrier
	ds_write_b16 v48, v34
	ds_write_b16 v48, v29 offset:4
	v_sub_f16_e32 v29, v46, v49
	v_and_or_b32 v17, v4, s0, v17
	v_fma_f16 v34, v46, 2.0, -v29
	v_lshl_add_u32 v17, v17, 1, 0
	s_movk_i32 s0, 0x3fc
	ds_write_b16 v17, v34
	ds_write_b16 v17, v29 offset:4
	v_sub_f16_e32 v29, v41, v38
	v_and_or_b32 v38, v5, s0, v22
	v_fma_f16 v34, v41, 2.0, -v29
	v_lshl_add_u32 v38, v38, 1, 0
	v_sub_f16_e32 v24, v43, v24
	v_and_or_b32 v19, v6, s0, v19
	ds_write_b16 v38, v34
	ds_write_b16 v38, v29 offset:4
	v_fma_f16 v29, v43, 2.0, -v24
	v_lshl_add_u32 v19, v19, 1, 0
	s_movk_i32 s0, 0x7fc
	ds_write_b16 v19, v29
	ds_write_b16 v19, v24 offset:4
	v_sub_f16_e32 v24, v44, v37
	v_and_or_b32 v22, v15, s0, v22
	v_fma_f16 v29, v44, 2.0, -v24
	v_lshl_add_u32 v22, v22, 1, 0
	s_movk_i32 s0, 0x5fc
	ds_write_b16 v22, v29
	ds_write_b16 v22, v24 offset:4
	v_and_or_b32 v16, v28, s0, v16
	v_sub_f16_e32 v24, v45, v27
	v_fma_f16 v27, v45, 2.0, -v24
	v_lshl_add_u32 v16, v16, 1, 0
	ds_write_b16 v16, v27
	ds_write_b16 v16, v24 offset:4
	v_sub_f16_e32 v24, v26, v35
	v_fma_f16 v26, v26, 2.0, -v24
	v_sub_f16_e32 v18, v31, v18
	s_waitcnt lgkmcnt(0)
	s_barrier
	ds_read_u16 v51, v32
	ds_read_u16 v52, v42
	ds_read_u16 v53, v13
	ds_read_u16 v34, v13 offset:1170
	ds_read_u16 v35, v13 offset:1404
	ds_read_u16 v29, v33
	ds_read_u16 v54, v30
	ds_read_u16 v41, v13 offset:2340
	ds_read_u16 v44, v13 offset:2574
	ds_read_u16 v43, v13 offset:2106
	ds_read_u16 v37, v13 offset:1872
	ds_read_u16 v46, v13 offset:1638
	s_waitcnt lgkmcnt(0)
	s_barrier
	ds_write_b16 v48, v26
	ds_write_b16 v48, v24 offset:4
	v_fma_f16 v24, v31, 2.0, -v18
	ds_write_b16 v17, v24
	ds_write_b16 v17, v18 offset:4
	v_sub_f16_e32 v17, v36, v25
	v_fma_f16 v18, v36, 2.0, -v17
	ds_write_b16 v38, v18
	ds_write_b16 v38, v17 offset:4
	v_sub_f16_e32 v17, v39, v20
	;; [unrolled: 4-line block ×4, first 2 shown]
	v_fma_f16 v18, v40, 2.0, -v17
	v_and_b32_e32 v25, 3, v10
	ds_write_b16 v16, v18
	ds_write_b16 v16, v17 offset:4
	v_lshlrev_b32_e32 v16, 3, v25
	s_waitcnt lgkmcnt(0)
	s_barrier
	global_load_dwordx2 v[18:19], v16, s[8:9] offset:8
	v_and_b32_e32 v31, 3, v7
	v_lshlrev_b32_e32 v16, 3, v31
	global_load_dwordx2 v[21:22], v16, s[8:9] offset:8
	v_and_b32_e32 v47, 3, v11
	v_lshlrev_b32_e32 v16, 3, v47
	global_load_dwordx2 v[23:24], v16, s[8:9] offset:8
	v_lshlrev_b32_e32 v16, 3, v55
	global_load_dwordx2 v[27:28], v16, s[8:9] offset:8
	ds_read_u16 v20, v33
	ds_read_u16 v16, v30
	s_movk_i32 s0, 0x6c
	v_cmp_gt_u32_e64 s[0:1], s0, v10
	s_waitcnt vmcnt(3) lgkmcnt(1)
	v_mul_f16_sdwa v17, v20, v18 dst_sel:DWORD dst_unused:UNUSED_PAD src0_sel:DWORD src1_sel:WORD_1
	v_mul_f16_sdwa v26, v29, v18 dst_sel:DWORD dst_unused:UNUSED_PAD src0_sel:DWORD src1_sel:WORD_1
	v_fma_f16 v17, v29, v18, -v17
	v_fma_f16 v20, v20, v18, v26
	ds_read_u16 v18, v13 offset:1872
	ds_read_u16 v36, v13 offset:2106
	;; [unrolled: 1-line block ×6, first 2 shown]
	s_waitcnt lgkmcnt(5)
	v_mul_f16_sdwa v26, v18, v19 dst_sel:DWORD dst_unused:UNUSED_PAD src0_sel:DWORD src1_sel:WORD_1
	v_mul_f16_sdwa v29, v37, v19 dst_sel:DWORD dst_unused:UNUSED_PAD src0_sel:DWORD src1_sel:WORD_1
	v_fma_f16 v26, v37, v19, -v26
	v_fma_f16 v29, v18, v19, v29
	ds_read_u16 v18, v13 offset:1404
	ds_read_u16 v30, v13
	s_waitcnt vmcnt(2) lgkmcnt(2)
	v_mul_f16_sdwa v19, v38, v21 dst_sel:DWORD dst_unused:UNUSED_PAD src0_sel:DWORD src1_sel:WORD_1
	v_fma_f16 v33, v34, v21, -v19
	v_mul_f16_sdwa v19, v34, v21 dst_sel:DWORD dst_unused:UNUSED_PAD src0_sel:DWORD src1_sel:WORD_1
	v_fma_f16 v37, v38, v21, v19
	v_mul_f16_sdwa v19, v36, v22 dst_sel:DWORD dst_unused:UNUSED_PAD src0_sel:DWORD src1_sel:WORD_1
	v_fma_f16 v38, v43, v22, -v19
	v_mul_f16_sdwa v19, v43, v22 dst_sel:DWORD dst_unused:UNUSED_PAD src0_sel:DWORD src1_sel:WORD_1
	v_fma_f16 v43, v36, v22, v19
	s_waitcnt vmcnt(1) lgkmcnt(1)
	v_mul_f16_sdwa v19, v18, v23 dst_sel:DWORD dst_unused:UNUSED_PAD src0_sel:DWORD src1_sel:WORD_1
	v_fma_f16 v34, v35, v23, -v19
	v_mul_f16_sdwa v19, v35, v23 dst_sel:DWORD dst_unused:UNUSED_PAD src0_sel:DWORD src1_sel:WORD_1
	v_fma_f16 v39, v18, v23, v19
	v_mul_f16_sdwa v18, v45, v24 dst_sel:DWORD dst_unused:UNUSED_PAD src0_sel:DWORD src1_sel:WORD_1
	v_fma_f16 v40, v41, v24, -v18
	v_mul_f16_sdwa v18, v41, v24 dst_sel:DWORD dst_unused:UNUSED_PAD src0_sel:DWORD src1_sel:WORD_1
	v_fma_f16 v45, v45, v24, v18
	s_waitcnt vmcnt(0)
	v_mul_f16_sdwa v18, v48, v27 dst_sel:DWORD dst_unused:UNUSED_PAD src0_sel:DWORD src1_sel:WORD_1
	v_fma_f16 v35, v46, v27, -v18
	v_mul_f16_sdwa v18, v46, v27 dst_sel:DWORD dst_unused:UNUSED_PAD src0_sel:DWORD src1_sel:WORD_1
	v_fma_f16 v48, v48, v27, v18
	v_mul_f16_sdwa v18, v50, v28 dst_sel:DWORD dst_unused:UNUSED_PAD src0_sel:DWORD src1_sel:WORD_1
	v_fma_f16 v49, v44, v28, -v18
	v_mul_f16_sdwa v18, v44, v28 dst_sel:DWORD dst_unused:UNUSED_PAD src0_sel:DWORD src1_sel:WORD_1
	v_fma_f16 v50, v50, v28, v18
	v_add_f16_e32 v18, v17, v26
	v_fma_f16 v18, v18, -0.5, v53
	v_sub_f16_e32 v19, v20, v29
	v_fma_f16 v21, v19, s6, v18
	v_fma_f16 v22, v19, s7, v18
	v_add_f16_e32 v18, v33, v38
	v_fma_f16 v18, v18, -0.5, v51
	v_sub_f16_e32 v19, v37, v43
	v_fma_f16 v23, v19, s6, v18
	;; [unrolled: 5-line block ×3, first 2 shown]
	v_fma_f16 v28, v19, s7, v18
	v_add_f16_e32 v18, v35, v49
	v_lshrrev_b32_e32 v44, 2, v11
	v_lshrrev_b32_e32 v46, 2, v12
	v_fma_f16 v18, v18, -0.5, v54
	v_sub_f16_e32 v19, v48, v50
	v_mul_lo_u32 v44, v44, 12
	v_mul_lo_u32 v46, v46, 12
	v_fma_f16 v36, v19, s6, v18
	v_fma_f16 v41, v19, s7, v18
	v_lshrrev_b32_e32 v19, 2, v7
	v_mul_lo_u32 v19, v19, 12
	v_or_b32_e32 v47, v44, v47
	v_or_b32_e32 v55, v46, v55
	ds_read_u16 v44, v32
	ds_read_u16 v46, v42
	v_lshrrev_b32_e32 v18, 2, v10
	v_mul_u32_u24_e32 v18, 12, v18
	v_or_b32_e32 v56, v19, v31
	v_add_f16_e32 v31, v52, v34
	v_or_b32_e32 v18, v18, v25
	v_add_f16_e32 v19, v53, v17
	v_add_f16_e32 v25, v51, v33
	;; [unrolled: 1-line block ×7, first 2 shown]
	v_lshl_add_u32 v51, v18, 1, 0
	v_lshl_add_u32 v52, v56, 1, 0
	v_lshl_add_u32 v53, v47, 1, 0
	v_lshl_add_u32 v54, v55, 1, 0
	s_waitcnt lgkmcnt(0)
	s_barrier
	ds_write_b16 v51, v19
	ds_write_b16 v51, v21 offset:8
	ds_write_b16 v51, v22 offset:16
	ds_write_b16 v52, v25
	ds_write_b16 v52, v23 offset:8
	ds_write_b16 v52, v24 offset:16
	ds_write_b16 v53, v32
	ds_write_b16 v53, v27 offset:8
	ds_write_b16 v53, v28 offset:16
	ds_write_b16 v54, v31
	ds_write_b16 v54, v36 offset:8
	ds_write_b16 v54, v41 offset:16
	s_waitcnt lgkmcnt(0)
	s_barrier
	s_waitcnt lgkmcnt(0)
                                        ; implicit-def: $vgpr42
	s_and_saveexec_b64 s[4:5], s[0:1]
	s_cbranch_execz .LBB0_15
; %bb.14:
	ds_read_u16 v19, v13
	ds_read_u16 v21, v13 offset:216
	ds_read_u16 v22, v13 offset:432
	;; [unrolled: 1-line block ×12, first 2 shown]
.LBB0_15:
	s_or_b64 exec, exec, s[4:5]
	v_add_f16_e32 v18, v30, v20
	v_add_f16_e32 v20, v20, v29
	v_fma_f16 v20, v20, -0.5, v30
	v_sub_f16_e32 v17, v17, v26
	v_add_f16_e32 v18, v18, v29
	v_fma_f16 v29, v17, s7, v20
	v_fma_f16 v26, v17, s6, v20
	v_add_f16_e32 v17, v44, v37
	v_add_f16_e32 v30, v17, v43
	v_add_f16_e32 v17, v37, v43
	v_fma_f16 v17, v17, -0.5, v44
	v_sub_f16_e32 v20, v33, v38
	v_fma_f16 v43, v20, s7, v17
	v_fma_f16 v37, v20, s6, v17
	v_add_f16_e32 v17, v46, v39
	v_add_f16_e32 v44, v17, v45
	v_add_f16_e32 v17, v39, v45
	v_fma_f16 v17, v17, -0.5, v46
	v_sub_f16_e32 v20, v34, v40
	;; [unrolled: 7-line block ×3, first 2 shown]
	v_fma_f16 v48, v17, s7, v16
	v_fma_f16 v49, v17, s6, v16
	s_waitcnt lgkmcnt(0)
	s_barrier
	ds_write_b16 v51, v18
	ds_write_b16 v51, v29 offset:8
	ds_write_b16 v51, v26 offset:16
	ds_write_b16 v52, v30
	ds_write_b16 v52, v43 offset:8
	ds_write_b16 v52, v37 offset:16
	;; [unrolled: 3-line block ×4, first 2 shown]
	s_waitcnt lgkmcnt(0)
	s_barrier
	s_waitcnt lgkmcnt(0)
                                        ; implicit-def: $vgpr50
	s_and_saveexec_b64 s[4:5], s[0:1]
	s_cbranch_execz .LBB0_17
; %bb.16:
	ds_read_u16 v18, v13
	ds_read_u16 v29, v13 offset:216
	ds_read_u16 v26, v13 offset:432
	;; [unrolled: 1-line block ×12, first 2 shown]
.LBB0_17:
	s_or_b64 exec, exec, s[4:5]
	s_movk_i32 s4, 0xab
	v_mul_lo_u16_sdwa v16, v10, s4 dst_sel:DWORD dst_unused:UNUSED_PAD src0_sel:BYTE_0 src1_sel:DWORD
	v_lshrrev_b16_e32 v16, 11, v16
	v_mul_lo_u16_e32 v17, 12, v16
	v_sub_u16_e32 v17, v10, v17
	v_mov_b32_e32 v20, 12
	v_mul_u32_u24_sdwa v20, v17, v20 dst_sel:DWORD dst_unused:UNUSED_PAD src0_sel:BYTE_0 src1_sel:DWORD
	v_lshlrev_b32_e32 v20, 2, v20
	global_load_dwordx4 v[52:55], v20, s[8:9] offset:40
	global_load_dwordx4 v[56:59], v20, s[8:9] offset:56
	;; [unrolled: 1-line block ×3, first 2 shown]
	v_sub_u32_e32 v38, 0, v4
	v_sub_u32_e32 v35, 0, v5
	;; [unrolled: 1-line block ×4, first 2 shown]
	s_waitcnt vmcnt(0) lgkmcnt(0)
	s_barrier
	v_mul_f16_sdwa v33, v29, v52 dst_sel:DWORD dst_unused:UNUSED_PAD src0_sel:DWORD src1_sel:WORD_1
	v_mul_f16_sdwa v34, v21, v52 dst_sel:DWORD dst_unused:UNUSED_PAD src0_sel:DWORD src1_sel:WORD_1
	;; [unrolled: 1-line block ×24, first 2 shown]
	v_fma_f16 v51, v21, v52, -v33
	v_fma_f16 v52, v29, v52, v34
	v_fma_f16 v39, v22, v53, -v39
	v_fma_f16 v40, v26, v53, v40
	;; [unrolled: 2-line block ×12, first 2 shown]
	s_and_saveexec_b64 s[4:5], s[0:1]
	s_cbranch_execz .LBB0_19
; %bb.18:
	v_sub_f16_e32 v42, v52, v56
	v_add_f16_e32 v41, v51, v55
	v_mul_f16_e32 v45, 0xb3a8, v42
	s_mov_b32 s6, 0xbbc4
	v_sub_f16_e32 v48, v40, v44
	v_fma_f16 v46, v41, s6, v45
	v_add_f16_e32 v47, v39, v43
	v_mul_f16_e32 v49, 0x3770, v48
	s_movk_i32 s7, 0x3b15
	v_add_f16_e32 v46, v19, v46
	v_fma_f16 v50, v47, s7, v49
	v_sub_f16_e32 v53, v34, v37
	v_add_f16_e32 v46, v50, v46
	v_add_f16_e32 v50, v33, v36
	v_mul_f16_e32 v54, 0xb94e, v53
	s_mov_b32 s10, 0xb9fd
	v_fma_f16 v57, v50, s10, v54
	v_sub_f16_e32 v58, v30, v32
	v_add_f16_e32 v46, v57, v46
	v_add_f16_e32 v57, v29, v31
	v_mul_f16_e32 v59, 0x3a95, v58
	s_movk_i32 s11, 0x388b
	v_fma_f16 v45, v41, s6, -v45
	v_fma_f16 v60, v57, s11, v59
	v_sub_f16_e32 v61, v26, v28
	v_add_f16_e32 v45, v19, v45
	v_fma_f16 v49, v47, s7, -v49
	v_add_f16_e32 v46, v60, v46
	v_add_f16_e32 v60, v25, v27
	v_mul_f16_e32 v62, 0xbb7b, v61
	s_mov_b32 s14, 0xb5ac
	v_add_f16_e32 v45, v49, v45
	v_fma_f16 v49, v50, s10, -v54
	v_fma_f16 v63, v60, s14, v62
	v_sub_f16_e32 v64, v22, v24
	v_add_f16_e32 v45, v49, v45
	v_fma_f16 v49, v57, s11, -v59
	v_add_f16_e32 v46, v63, v46
	v_add_f16_e32 v63, v21, v23
	v_mul_f16_e32 v65, 0x3bf1, v64
	s_movk_i32 s15, 0x2fb7
	v_add_f16_e32 v45, v49, v45
	v_fma_f16 v49, v60, s14, -v62
	v_add_f16_e32 v45, v49, v45
	v_fma_f16 v49, v63, s15, -v65
	v_add_f16_e32 v45, v49, v45
	v_mul_f16_e32 v49, 0xb94e, v42
	v_fma_f16 v54, v41, s10, v49
	v_mul_f16_e32 v59, 0x3bf1, v48
	v_add_f16_e32 v54, v19, v54
	v_fma_f16 v62, v47, s15, v59
	v_add_f16_e32 v54, v62, v54
	v_mul_f16_e32 v62, 0xba95, v53
	v_fma_f16 v66, v63, s15, v65
	v_fma_f16 v65, v50, s11, v62
	v_add_f16_e32 v54, v65, v54
	v_mul_f16_e32 v65, 0x33a8, v58
	v_fma_f16 v49, v41, s10, -v49
	v_add_f16_e32 v46, v66, v46
	v_fma_f16 v66, v57, s6, v65
	v_add_f16_e32 v49, v19, v49
	v_fma_f16 v59, v47, s15, -v59
	v_add_f16_e32 v54, v66, v54
	v_mul_f16_e32 v66, 0x3770, v61
	v_add_f16_e32 v49, v59, v49
	v_fma_f16 v59, v50, s11, -v62
	v_fma_f16 v67, v60, s7, v66
	v_add_f16_e32 v49, v59, v49
	v_fma_f16 v59, v57, s6, -v65
	v_add_f16_e32 v54, v67, v54
	v_mul_f16_e32 v67, 0xbb7b, v64
	v_add_f16_e32 v49, v59, v49
	v_fma_f16 v59, v60, s7, -v66
	v_add_f16_e32 v49, v59, v49
	v_fma_f16 v59, v63, s14, -v67
	v_add_f16_e32 v49, v59, v49
	v_mul_f16_e32 v59, 0xbb7b, v42
	v_fma_f16 v62, v41, s14, v59
	v_mul_f16_e32 v65, 0x394e, v48
	v_add_f16_e32 v62, v19, v62
	v_fma_f16 v66, v47, s10, v65
	v_add_f16_e32 v62, v66, v62
	v_mul_f16_e32 v66, 0x3770, v53
	v_fma_f16 v68, v63, s14, v67
	v_fma_f16 v67, v50, s7, v66
	v_add_f16_e32 v62, v67, v62
	v_mul_f16_e32 v67, 0xbbf1, v58
	v_fma_f16 v59, v41, s14, -v59
	v_add_f16_e32 v54, v68, v54
	v_fma_f16 v68, v57, s15, v67
	v_add_f16_e32 v59, v19, v59
	v_fma_f16 v65, v47, s10, -v65
	v_add_f16_e32 v62, v68, v62
	v_mul_f16_e32 v68, 0x33a8, v61
	v_add_f16_e32 v59, v65, v59
	v_fma_f16 v65, v50, s7, -v66
	v_fma_f16 v69, v60, s6, v68
	v_add_f16_e32 v59, v65, v59
	v_fma_f16 v65, v57, s15, -v67
	v_add_f16_e32 v62, v69, v62
	v_mul_f16_e32 v69, 0x3a95, v64
	;; [unrolled: 30-line block ×3, first 2 shown]
	v_add_f16_e32 v65, v67, v65
	v_fma_f16 v67, v60, s11, -v70
	v_add_f16_e32 v65, v67, v65
	v_fma_f16 v67, v63, s10, -v71
	v_add_f16_e32 v65, v67, v65
	v_mul_f16_e32 v67, 0xba95, v42
	v_fma_f16 v68, v41, s11, v67
	v_mul_f16_e32 v69, 0xbb7b, v48
	v_add_f16_e32 v68, v19, v68
	v_fma_f16 v70, v47, s14, v69
	v_add_f16_e32 v68, v70, v68
	v_mul_f16_e32 v70, 0xb3a8, v53
	v_fma_f16 v72, v63, s10, v71
	v_fma_f16 v71, v50, s6, v70
	v_fma_f16 v67, v41, s11, -v67
	v_add_f16_e32 v68, v71, v68
	v_mul_f16_e32 v71, 0x394e, v58
	v_add_f16_e32 v67, v19, v67
	v_fma_f16 v69, v47, s14, -v69
	v_add_f16_e32 v66, v72, v66
	v_fma_f16 v72, v57, s10, v71
	v_add_f16_e32 v67, v69, v67
	v_fma_f16 v69, v50, s6, -v70
	v_add_f16_e32 v68, v72, v68
	v_mul_f16_e32 v72, 0x3bf1, v61
	v_add_f16_e32 v67, v69, v67
	v_add_f16_e32 v69, v19, v51
	v_fma_f16 v73, v60, s15, v72
	v_add_f16_e32 v69, v69, v39
	v_fma_f16 v70, v57, s10, -v71
	v_add_f16_e32 v68, v73, v68
	v_mul_f16_e32 v73, 0x3770, v64
	v_add_f16_e32 v69, v69, v33
	v_add_f16_e32 v67, v70, v67
	v_fma_f16 v70, v60, s15, -v72
	v_add_f16_e32 v69, v69, v29
	v_add_f16_e32 v67, v70, v67
	v_fma_f16 v70, v63, s7, -v73
	v_mul_f16_e32 v42, 0xb770, v42
	v_add_f16_e32 v69, v69, v25
	v_add_f16_e32 v67, v70, v67
	v_fma_f16 v70, v41, s7, v42
	v_mul_f16_e32 v48, 0xba95, v48
	v_fma_f16 v41, v41, s7, -v42
	v_add_f16_e32 v69, v69, v21
	v_add_f16_e32 v70, v19, v70
	v_mul_f16_e32 v53, 0xbbf1, v53
	v_add_f16_e32 v19, v19, v41
	v_fma_f16 v41, v47, s11, -v48
	v_add_f16_e32 v69, v69, v23
	v_mul_f16_e32 v58, 0xbb7b, v58
	v_add_f16_e32 v19, v41, v19
	v_fma_f16 v41, v50, s15, -v53
	v_add_f16_e32 v69, v69, v27
	v_fma_f16 v71, v47, s11, v48
	v_mul_f16_e32 v61, 0xb94e, v61
	v_add_f16_e32 v19, v41, v19
	v_fma_f16 v41, v57, s14, -v58
	v_add_f16_e32 v69, v69, v31
	v_add_f16_e32 v70, v71, v70
	v_fma_f16 v71, v50, s15, v53
	v_mul_f16_e32 v64, 0xb3a8, v64
	v_add_f16_e32 v19, v41, v19
	v_fma_f16 v41, v60, s10, -v61
	v_add_f16_e32 v69, v69, v36
	v_add_f16_e32 v70, v71, v70
	v_fma_f16 v71, v57, s14, v58
	v_add_f16_e32 v19, v41, v19
	v_fma_f16 v41, v63, s6, -v64
	v_mov_b32_e32 v42, 1
	v_add_f16_e32 v69, v69, v43
	v_add_f16_e32 v70, v71, v70
	v_fma_f16 v71, v60, s10, v61
	v_add_f16_e32 v19, v41, v19
	v_mul_u32_u24_e32 v41, 0x138, v16
	v_lshlrev_b32_sdwa v42, v42, v17 dst_sel:DWORD dst_unused:UNUSED_PAD src0_sel:DWORD src1_sel:BYTE_0
	v_fma_f16 v74, v63, s7, v73
	v_add_f16_e32 v69, v69, v55
	v_add_f16_e32 v70, v71, v70
	v_fma_f16 v71, v63, s6, v64
	v_add3_u32 v41, 0, v41, v42
	v_add_f16_e32 v68, v74, v68
	v_add_f16_e32 v70, v71, v70
	ds_write_b16 v41, v69
	ds_write_b16 v41, v19 offset:24
	ds_write_b16 v41, v67 offset:48
	ds_write_b16 v41, v65 offset:72
	ds_write_b16 v41, v59 offset:96
	ds_write_b16 v41, v49 offset:120
	ds_write_b16 v41, v45 offset:144
	ds_write_b16 v41, v46 offset:168
	ds_write_b16 v41, v54 offset:192
	ds_write_b16 v41, v62 offset:216
	ds_write_b16 v41, v66 offset:240
	ds_write_b16 v41, v68 offset:264
	ds_write_b16 v41, v70 offset:288
.LBB0_19:
	s_or_b64 exec, exec, s[4:5]
	v_add_u32_e32 v14, v14, v15
	s_waitcnt lgkmcnt(0)
	s_barrier
	v_add_u32_e32 v15, v8, v38
	v_add_u32_e32 v19, v9, v35
	ds_read_u16 v42, v13
	ds_read_u16 v46, v13 offset:1170
	ds_read_u16 v45, v13 offset:1404
	v_add_u32_e32 v20, v3, v20
	ds_read_u16 v53, v14
	ds_read_u16 v41, v15
	;; [unrolled: 1-line block ×4, first 2 shown]
	ds_read_u16 v50, v13 offset:2106
	ds_read_u16 v48, v13 offset:2340
	;; [unrolled: 1-line block ×5, first 2 shown]
	s_waitcnt lgkmcnt(0)
	s_barrier
	s_and_saveexec_b64 s[4:5], s[0:1]
	s_cbranch_execz .LBB0_21
; %bb.20:
	v_add_f16_e32 v3, v18, v52
	v_add_f16_e32 v3, v3, v40
	;; [unrolled: 1-line block ×10, first 2 shown]
	v_sub_f16_e32 v9, v51, v55
	v_add_f16_e32 v3, v3, v44
	v_add_f16_e32 v8, v52, v56
	v_mul_f16_e32 v51, 0xb770, v9
	s_movk_i32 s0, 0x3b15
	v_mul_f16_e32 v55, 0xba95, v9
	s_movk_i32 s1, 0x388b
	;; [unrolled: 2-line block ×3, first 2 shown]
	v_mul_f16_e32 v59, 0xbb7b, v9
	s_mov_b32 s7, 0xb5ac
	v_mul_f16_e32 v61, 0xb94e, v9
	s_mov_b32 s10, 0xb9fd
	;; [unrolled: 2-line block ×3, first 2 shown]
	v_add_f16_e32 v3, v3, v56
	v_fma_f16 v52, v8, s0, v51
	v_fma_f16 v51, v8, s0, -v51
	v_fma_f16 v56, v8, s1, v55
	v_fma_f16 v55, v8, s1, -v55
	;; [unrolled: 2-line block ×6, first 2 shown]
	v_add_f16_e32 v52, v18, v52
	v_add_f16_e32 v51, v18, v51
	;; [unrolled: 1-line block ×12, first 2 shown]
	v_sub_f16_e32 v18, v39, v43
	v_add_f16_e32 v9, v40, v44
	v_mul_f16_e32 v39, 0xba95, v18
	v_fma_f16 v40, v9, s1, v39
	v_fma_f16 v39, v9, s1, -v39
	v_mul_f16_e32 v43, 0xbb7b, v18
	v_add_f16_e32 v39, v39, v51
	v_fma_f16 v44, v9, s7, v43
	v_fma_f16 v43, v9, s7, -v43
	v_mul_f16_e32 v51, 0xb3a8, v18
	v_add_f16_e32 v40, v40, v52
	v_add_f16_e32 v43, v43, v55
	v_fma_f16 v52, v9, s11, v51
	v_fma_f16 v51, v9, s11, -v51
	v_mul_f16_e32 v55, 0x394e, v18
	v_add_f16_e32 v44, v44, v56
	v_add_f16_e32 v51, v51, v57
	v_fma_f16 v56, v9, s10, v55
	v_fma_f16 v55, v9, s10, -v55
	v_mul_f16_e32 v57, 0x3bf1, v18
	v_mul_f16_e32 v18, 0x3770, v18
	v_add_f16_e32 v52, v52, v58
	v_add_f16_e32 v55, v55, v59
	v_fma_f16 v58, v9, s6, v57
	v_fma_f16 v57, v9, s6, -v57
	v_fma_f16 v59, v9, s0, v18
	v_fma_f16 v9, v9, s0, -v18
	v_sub_f16_e32 v18, v33, v36
	v_add_f16_e32 v8, v9, v8
	v_add_f16_e32 v9, v34, v37
	v_mul_f16_e32 v33, 0xbbf1, v18
	v_fma_f16 v34, v9, s6, v33
	v_fma_f16 v33, v9, s6, -v33
	v_mul_f16_e32 v36, 0xb3a8, v18
	v_add_f16_e32 v33, v33, v39
	v_fma_f16 v37, v9, s11, v36
	v_fma_f16 v36, v9, s11, -v36
	v_mul_f16_e32 v39, 0x3b7b, v18
	v_add_f16_e32 v34, v34, v40
	v_add_f16_e32 v36, v36, v43
	v_fma_f16 v40, v9, s7, v39
	v_fma_f16 v39, v9, s7, -v39
	v_mul_f16_e32 v43, 0x3770, v18
	v_add_f16_e32 v37, v37, v44
	v_add_f16_e32 v39, v39, v51
	v_fma_f16 v44, v9, s0, v43
	v_fma_f16 v43, v9, s0, -v43
	v_mul_f16_e32 v51, 0xba95, v18
	v_mul_f16_e32 v18, 0xb94e, v18
	v_add_f16_e32 v40, v40, v52
	v_add_f16_e32 v43, v43, v55
	v_fma_f16 v52, v9, s1, v51
	v_fma_f16 v51, v9, s1, -v51
	v_fma_f16 v55, v9, s10, v18
	v_fma_f16 v9, v9, s10, -v18
	v_sub_f16_e32 v18, v29, v31
	v_add_f16_e32 v8, v9, v8
	v_add_f16_e32 v9, v30, v32
	v_mul_f16_e32 v29, 0xbb7b, v18
	v_fma_f16 v30, v9, s7, v29
	v_fma_f16 v29, v9, s7, -v29
	v_mul_f16_e32 v31, 0x394e, v18
	v_add_f16_e32 v29, v29, v33
	v_fma_f16 v32, v9, s10, v31
	v_fma_f16 v31, v9, s10, -v31
	v_mul_f16_e32 v33, 0x3770, v18
	v_add_f16_e32 v30, v30, v34
	v_add_f16_e32 v31, v31, v36
	v_fma_f16 v34, v9, s0, v33
	v_fma_f16 v33, v9, s0, -v33
	v_mul_f16_e32 v36, 0xbbf1, v18
	v_add_f16_e32 v32, v32, v37
	v_add_f16_e32 v33, v33, v39
	v_fma_f16 v37, v9, s6, v36
	v_fma_f16 v36, v9, s6, -v36
	v_mul_f16_e32 v39, 0x33a8, v18
	v_mul_f16_e32 v18, 0x3a95, v18
	v_add_f16_e32 v34, v34, v40
	v_add_f16_e32 v36, v36, v43
	v_fma_f16 v40, v9, s11, v39
	v_fma_f16 v39, v9, s11, -v39
	v_fma_f16 v43, v9, s1, v18
	v_fma_f16 v9, v9, s1, -v18
	v_sub_f16_e32 v18, v25, v27
	v_add_f16_e32 v8, v9, v8
	v_add_f16_e32 v9, v26, v28
	v_mul_f16_e32 v25, 0xb94e, v18
	v_fma_f16 v26, v9, s10, v25
	v_fma_f16 v25, v9, s10, -v25
	v_mul_f16_e32 v27, 0x3bf1, v18
	v_add_f16_e32 v25, v25, v29
	v_fma_f16 v28, v9, s6, v27
	v_fma_f16 v27, v9, s6, -v27
	v_mul_f16_e32 v29, 0xba95, v18
	v_add_f16_e32 v26, v26, v30
	v_add_f16_e32 v27, v27, v31
	v_fma_f16 v30, v9, s1, v29
	v_fma_f16 v29, v9, s1, -v29
	v_mul_f16_e32 v31, 0x33a8, v18
	v_add_f16_e32 v28, v28, v32
	v_add_f16_e32 v29, v29, v33
	v_fma_f16 v32, v9, s11, v31
	v_fma_f16 v31, v9, s11, -v31
	v_mul_f16_e32 v33, 0x3770, v18
	v_mul_f16_e32 v18, 0xbb7b, v18
	v_add_f16_e32 v30, v30, v34
	v_add_f16_e32 v31, v31, v36
	v_fma_f16 v34, v9, s0, v33
	v_fma_f16 v33, v9, s0, -v33
	v_fma_f16 v36, v9, s7, v18
	v_fma_f16 v9, v9, s7, -v18
	v_sub_f16_e32 v18, v21, v23
	v_add_f16_e32 v8, v9, v8
	v_add_f16_e32 v9, v22, v24
	v_mul_f16_e32 v21, 0xb3a8, v18
	v_fma_f16 v22, v9, s11, v21
	v_fma_f16 v21, v9, s11, -v21
	v_mul_f16_e32 v23, 0x3770, v18
	v_add_f16_e32 v21, v21, v25
	v_fma_f16 v24, v9, s0, v23
	v_fma_f16 v23, v9, s0, -v23
	v_mul_f16_e32 v25, 0xb94e, v18
	v_add_f16_e32 v22, v22, v26
	v_add_f16_e32 v23, v23, v27
	v_fma_f16 v26, v9, s10, v25
	v_fma_f16 v25, v9, s10, -v25
	v_mul_f16_e32 v27, 0x3a95, v18
	v_add_f16_e32 v24, v24, v28
	v_add_f16_e32 v25, v25, v29
	v_fma_f16 v28, v9, s1, v27
	v_fma_f16 v27, v9, s1, -v27
	v_mul_f16_e32 v29, 0xbb7b, v18
	v_mul_f16_e32 v18, 0x3bf1, v18
	v_add_f16_e32 v56, v56, v60
	v_add_f16_e32 v58, v58, v62
	;; [unrolled: 1-line block ×6, first 2 shown]
	v_fma_f16 v30, v9, s7, v29
	v_fma_f16 v29, v9, s7, -v29
	v_fma_f16 v31, v9, s6, v18
	v_fma_f16 v9, v9, s6, -v18
	v_add_f16_e32 v44, v44, v56
	v_add_f16_e32 v52, v52, v58
	;; [unrolled: 1-line block ×5, first 2 shown]
	v_mul_u32_u24_e32 v9, 0x138, v16
	v_mov_b32_e32 v16, 1
	v_add_f16_e32 v37, v37, v44
	v_add_f16_e32 v40, v40, v52
	;; [unrolled: 1-line block ×4, first 2 shown]
	v_lshlrev_b32_sdwa v16, v16, v17 dst_sel:DWORD dst_unused:UNUSED_PAD src0_sel:DWORD src1_sel:BYTE_0
	v_add_f16_e32 v32, v32, v37
	v_add_f16_e32 v34, v34, v40
	;; [unrolled: 1-line block ×4, first 2 shown]
	v_add3_u32 v9, 0, v9, v16
	v_add_f16_e32 v28, v28, v32
	v_add_f16_e32 v30, v30, v34
	;; [unrolled: 1-line block ×4, first 2 shown]
	ds_write_b16 v9, v3
	ds_write_b16 v9, v22 offset:24
	ds_write_b16 v9, v24 offset:48
	;; [unrolled: 1-line block ×12, first 2 shown]
.LBB0_21:
	s_or_b64 exec, exec, s[4:5]
	v_mov_b32_e32 v3, 0
	v_lshlrev_b64 v[8:9], 2, v[2:3]
	v_mov_b32_e32 v18, s9
	v_add_co_u32_e64 v8, s[0:1], s8, v8
	v_addc_co_u32_e64 v9, s[0:1], v18, v9, s[0:1]
	v_subrev_u32_e32 v2, 39, v10
	v_cmp_gt_u32_e64 s[0:1], 39, v10
	v_cndmask_b32_e64 v2, v2, v7, s[0:1]
	v_lshlrev_b32_e32 v2, 1, v2
	v_lshlrev_b64 v[21:22], 2, v[2:3]
	v_lshrrev_b16_e32 v7, 2, v11
	v_mul_u32_u24_e32 v7, 0xd21, v7
	v_add_co_u32_e64 v21, s[0:1], s8, v21
	v_lshrrev_b32_e32 v7, 17, v7
	v_addc_co_u32_e64 v22, s[0:1], v18, v22, s[0:1]
	v_mul_lo_u16_e32 v18, 0x9c, v7
	v_lshrrev_b16_e32 v23, 2, v12
	v_sub_u16_e32 v18, v11, v18
	v_mul_u32_u24_e32 v23, 0xd21, v23
	v_lshlrev_b32_e32 v11, 3, v18
	v_lshrrev_b32_e32 v25, 17, v23
	s_waitcnt lgkmcnt(0)
	s_barrier
	global_load_dwordx2 v[16:17], v[8:9], off offset:616
	global_load_dwordx2 v[23:24], v11, s[8:9] offset:616
	v_mul_lo_u16_e32 v11, 0x9c, v25
	global_load_dwordx2 v[21:22], v[21:22], off offset:616
	v_sub_u16_e32 v25, v12, v11
	v_lshlrev_b32_e32 v11, 3, v25
	global_load_dwordx2 v[11:12], v11, s[8:9] offset:616
	ds_read_u16 v26, v13
	ds_read_u16 v27, v13 offset:1170
	ds_read_u16 v28, v13 offset:1404
	ds_read_u16 v29, v14
	ds_read_u16 v30, v15
	;; [unrolled: 1-line block ×4, first 2 shown]
	ds_read_u16 v33, v13 offset:2106
	ds_read_u16 v34, v13 offset:2340
	;; [unrolled: 1-line block ×5, first 2 shown]
	s_movk_i32 s5, 0x3aee
	s_mov_b32 s6, 0xbaee
	v_cmp_lt_u32_e64 s[0:1], 38, v10
	v_lshlrev_b32_e32 v18, 1, v18
	s_waitcnt vmcnt(0) lgkmcnt(0)
	s_barrier
	s_movk_i32 s4, 0x3a8
	v_mul_f16_sdwa v40, v29, v16 dst_sel:DWORD dst_unused:UNUSED_PAD src0_sel:DWORD src1_sel:WORD_1
	v_mul_f16_sdwa v43, v53, v16 dst_sel:DWORD dst_unused:UNUSED_PAD src0_sel:DWORD src1_sel:WORD_1
	;; [unrolled: 1-line block ×4, first 2 shown]
	v_fma_f16 v40, v53, v16, -v40
	v_fma_f16 v16, v29, v16, v43
	v_fma_f16 v29, v54, v17, -v44
	v_fma_f16 v17, v37, v17, v51
	v_mul_f16_sdwa v37, v27, v21 dst_sel:DWORD dst_unused:UNUSED_PAD src0_sel:DWORD src1_sel:WORD_1
	v_mul_f16_sdwa v43, v46, v21 dst_sel:DWORD dst_unused:UNUSED_PAD src0_sel:DWORD src1_sel:WORD_1
	;; [unrolled: 1-line block ×3, first 2 shown]
	v_sub_f16_e32 v62, v16, v17
	v_fma_f16 v37, v46, v21, -v37
	v_fma_f16 v21, v27, v21, v43
	v_fma_f16 v27, v50, v22, -v44
	v_add_f16_e32 v44, v26, v16
	v_add_f16_e32 v16, v16, v17
	v_mul_f16_sdwa v51, v50, v22 dst_sel:DWORD dst_unused:UNUSED_PAD src0_sel:DWORD src1_sel:WORD_1
	v_mul_f16_sdwa v52, v28, v23 dst_sel:DWORD dst_unused:UNUSED_PAD src0_sel:DWORD src1_sel:WORD_1
	;; [unrolled: 1-line block ×9, first 2 shown]
	v_add_f16_e32 v60, v42, v40
	v_add_f16_e32 v44, v44, v17
	v_fma_f16 v16, v16, -0.5, v26
	v_sub_f16_e32 v17, v40, v29
	v_add_f16_e32 v61, v40, v29
	v_fma_f16 v22, v33, v22, v51
	v_fma_f16 v33, v45, v23, -v52
	v_fma_f16 v23, v28, v23, v53
	v_fma_f16 v28, v48, v24, -v54
	;; [unrolled: 2-line block ×4, first 2 shown]
	v_fma_f16 v12, v36, v12, v59
	v_add_f16_e32 v36, v60, v29
	v_fma_f16 v29, v17, s6, v16
	v_fma_f16 v40, v17, s5, v16
	v_add_f16_e32 v17, v37, v27
	v_fma_f16 v17, v17, -0.5, v41
	v_sub_f16_e32 v26, v21, v22
	v_add_f16_e32 v16, v41, v37
	v_fma_f16 v41, v26, s5, v17
	v_fma_f16 v17, v26, s6, v17
	v_add_f16_e32 v26, v30, v21
	v_add_f16_e32 v21, v21, v22
	;; [unrolled: 1-line block ×3, first 2 shown]
	v_fma_f16 v21, v21, -0.5, v30
	v_sub_f16_e32 v22, v37, v27
	v_add_f16_e32 v16, v16, v27
	v_fma_f16 v27, v22, s6, v21
	v_fma_f16 v30, v22, s5, v21
	v_add_f16_e32 v22, v33, v28
	v_fma_f16 v22, v22, -0.5, v38
	v_sub_f16_e32 v26, v23, v24
	v_fma_f16 v37, v26, s5, v22
	v_fma_f16 v22, v26, s6, v22
	v_add_f16_e32 v26, v31, v23
	v_add_f16_e32 v23, v23, v24
	;; [unrolled: 1-line block ×4, first 2 shown]
	v_fma_f16 v23, v23, -0.5, v31
	v_sub_f16_e32 v24, v33, v28
	v_add_f16_e32 v21, v21, v28
	v_fma_f16 v28, v24, s6, v23
	v_fma_f16 v31, v24, s5, v23
	v_add_f16_e32 v24, v34, v39
	v_fma_f16 v24, v24, -0.5, v35
	v_sub_f16_e32 v26, v11, v12
	v_fma_f16 v33, v26, s5, v24
	v_fma_f16 v24, v26, s6, v24
	v_add_f16_e32 v26, v32, v11
	v_add_f16_e32 v11, v11, v12
	v_add_f16_e32 v23, v35, v34
	v_add_f16_e32 v35, v26, v12
	v_fma_f16 v11, v11, -0.5, v32
	v_sub_f16_e32 v12, v34, v39
	v_fma_f16 v32, v12, s6, v11
	v_fma_f16 v34, v12, s5, v11
	v_mov_b32_e32 v11, 0x3a8
	v_fma_f16 v42, v61, -0.5, v42
	v_cndmask_b32_e64 v11, 0, v11, s[0:1]
	v_fma_f16 v43, v62, s5, v42
	v_fma_f16 v42, v62, s6, v42
	ds_write_b16 v13, v36
	ds_write_b16 v13, v43 offset:312
	ds_write_b16 v13, v42 offset:624
	v_add3_u32 v36, 0, v11, v2
	v_mul_u32_u24_e32 v2, 0x3a8, v7
	v_add3_u32 v7, 0, v2, v18
	v_add_f16_e32 v23, v23, v39
	ds_write_b16 v36, v16
	ds_write_b16 v36, v41 offset:312
	ds_write_b16 v36, v17 offset:624
	ds_write_b16 v7, v21
	ds_write_b16 v7, v37 offset:312
	ds_write_b16 v7, v22 offset:624
	v_lshl_add_u32 v37, v25, 1, 0
	ds_write_b16 v37, v23 offset:1872
	ds_write_b16 v37, v33 offset:2184
	;; [unrolled: 1-line block ×3, first 2 shown]
	s_waitcnt lgkmcnt(0)
	s_barrier
	ds_read_u16 v2, v13
	ds_read_u16 v21, v13 offset:1170
	ds_read_u16 v22, v13 offset:1404
	ds_read_u16 v11, v14
	ds_read_u16 v16, v15
	;; [unrolled: 1-line block ×4, first 2 shown]
	ds_read_u16 v23, v13 offset:2106
	ds_read_u16 v24, v13 offset:2340
	;; [unrolled: 1-line block ×5, first 2 shown]
	s_waitcnt lgkmcnt(0)
	s_barrier
	ds_write_b16 v13, v44
	ds_write_b16 v13, v29 offset:312
	ds_write_b16 v13, v40 offset:624
	ds_write_b16 v36, v45
	ds_write_b16 v36, v27 offset:312
	ds_write_b16 v36, v30 offset:624
	;; [unrolled: 3-line block ×3, first 2 shown]
	ds_write_b16 v37, v35 offset:1872
	ds_write_b16 v37, v32 offset:2184
	;; [unrolled: 1-line block ×3, first 2 shown]
	s_waitcnt lgkmcnt(0)
	s_barrier
	s_and_saveexec_b64 s[0:1], vcc
	s_cbranch_execz .LBB0_23
; %bb.22:
	v_mov_b32_e32 v7, v3
	v_lshlrev_b64 v[6:7], 2, v[6:7]
	v_mov_b32_e32 v33, s9
	v_add_co_u32_e32 v27, vcc, s8, v6
	v_mov_b32_e32 v6, v3
	v_lshlrev_b64 v[5:6], 2, v[5:6]
	v_addc_co_u32_e32 v28, vcc, v33, v7, vcc
	v_add_co_u32_e32 v5, vcc, s8, v5
	v_addc_co_u32_e32 v6, vcc, v33, v6, vcc
	global_load_dwordx2 v[29:30], v[27:28], off offset:1864
	global_load_dwordx2 v[31:32], v[5:6], off offset:1864
	v_mov_b32_e32 v5, v3
	v_lshlrev_b64 v[3:4], 2, v[4:5]
	v_add_co_u32_e32 v3, vcc, s8, v3
	v_addc_co_u32_e32 v4, vcc, v33, v4, vcc
	global_load_dwordx2 v[5:6], v[3:4], off offset:1864
	global_load_dwordx2 v[27:28], v[8:9], off offset:1864
	ds_read_u16 v3, v13 offset:1638
	ds_read_u16 v4, v20
	ds_read_u16 v7, v19
	;; [unrolled: 1-line block ×4, first 2 shown]
	ds_read_u16 v14, v13 offset:2574
	ds_read_u16 v15, v13 offset:2340
	ds_read_u16 v19, v13 offset:2106
	ds_read_u16 v20, v13 offset:1872
	ds_read_u16 v33, v13 offset:1404
	ds_read_u16 v34, v13 offset:1170
	ds_read_u16 v13, v13
	s_waitcnt vmcnt(3) lgkmcnt(11)
	v_mul_f16_sdwa v35, v3, v29 dst_sel:DWORD dst_unused:UNUSED_PAD src0_sel:DWORD src1_sel:WORD_1
	v_mul_f16_sdwa v37, v26, v29 dst_sel:DWORD dst_unused:UNUSED_PAD src0_sel:DWORD src1_sel:WORD_1
	;; [unrolled: 1-line block ×3, first 2 shown]
	s_waitcnt vmcnt(2)
	v_mul_f16_sdwa v41, v22, v31 dst_sel:DWORD dst_unused:UNUSED_PAD src0_sel:DWORD src1_sel:WORD_1
	v_mul_f16_sdwa v42, v24, v32 dst_sel:DWORD dst_unused:UNUSED_PAD src0_sel:DWORD src1_sel:WORD_1
	s_waitcnt lgkmcnt(6)
	v_mul_f16_sdwa v36, v14, v30 dst_sel:DWORD dst_unused:UNUSED_PAD src0_sel:DWORD src1_sel:WORD_1
	s_waitcnt lgkmcnt(2)
	v_mul_f16_sdwa v39, v33, v31 dst_sel:DWORD dst_unused:UNUSED_PAD src0_sel:DWORD src1_sel:WORD_1
	v_mul_f16_sdwa v40, v15, v32 dst_sel:DWORD dst_unused:UNUSED_PAD src0_sel:DWORD src1_sel:WORD_1
	s_waitcnt vmcnt(1) lgkmcnt(1)
	v_mul_f16_sdwa v43, v34, v5 dst_sel:DWORD dst_unused:UNUSED_PAD src0_sel:DWORD src1_sel:WORD_1
	v_mul_f16_sdwa v44, v19, v6 dst_sel:DWORD dst_unused:UNUSED_PAD src0_sel:DWORD src1_sel:WORD_1
	;; [unrolled: 1-line block ×4, first 2 shown]
	v_fma_f16 v26, v26, v29, -v35
	v_fma_f16 v3, v29, v3, v37
	v_fma_f16 v14, v30, v14, v38
	;; [unrolled: 1-line block ×4, first 2 shown]
	v_fma_f16 v25, v25, v30, -v36
	v_fma_f16 v22, v22, v31, -v39
	;; [unrolled: 1-line block ×5, first 2 shown]
	v_fma_f16 v5, v5, v34, v45
	v_fma_f16 v6, v6, v19, v46
	v_add_f16_e32 v30, v3, v14
	v_sub_f16_e32 v32, v3, v14
	v_add_f16_e32 v3, v3, v4
	v_add_f16_e32 v34, v29, v15
	v_sub_f16_e32 v19, v26, v25
	v_add_f16_e32 v31, v26, v25
	;; [unrolled: 3-line block ×3, first 2 shown]
	v_add_f16_e32 v14, v14, v3
	v_fma_f16 v3, v34, -0.5, v7
	v_sub_f16_e32 v37, v21, v23
	v_fma_f16 v4, v30, -0.5, v4
	v_add_f16_e32 v25, v26, v25
	v_fma_f16 v26, v33, s5, v3
	v_fma_f16 v30, v33, s6, v3
	v_fma_f16 v3, v38, -0.5, v8
	v_add_f16_e32 v35, v22, v24
	v_add_f16_e32 v22, v17, v22
	v_fma_f16 v18, v31, -0.5, v18
	v_fma_f16 v31, v37, s5, v3
	v_fma_f16 v34, v37, s6, v3
	v_add_f16_e32 v3, v5, v8
	v_sub_f16_e32 v36, v29, v15
	v_add_f16_e32 v29, v29, v7
	v_fma_f16 v7, v35, -0.5, v17
	v_add_f16_e32 v17, v22, v24
	v_fma_f16 v24, v32, s6, v18
	v_fma_f16 v18, v32, s5, v18
	v_sub_f16_e32 v32, v5, v6
	v_add_f16_e32 v6, v6, v3
	v_add_f16_e32 v3, v16, v21
	v_fma_f16 v22, v19, s5, v4
	v_fma_f16 v19, v19, s6, v4
	v_add_f16_e32 v4, v21, v23
	v_add_f16_e32 v8, v3, v23
	s_waitcnt vmcnt(0)
	v_mul_f16_sdwa v3, v9, v27 dst_sel:DWORD dst_unused:UNUSED_PAD src0_sel:DWORD src1_sel:WORD_1
	v_fma_f16 v4, v4, -0.5, v16
	v_fma_f16 v16, v11, v27, -v3
	v_mul_f16_sdwa v3, v20, v28 dst_sel:DWORD dst_unused:UNUSED_PAD src0_sel:DWORD src1_sel:WORD_1
	v_fma_f16 v21, v12, v28, -v3
	v_mul_f16_sdwa v3, v11, v27 dst_sel:DWORD dst_unused:UNUSED_PAD src0_sel:DWORD src1_sel:WORD_1
	v_fma_f16 v9, v27, v9, v3
	v_mul_f16_sdwa v3, v12, v28 dst_sel:DWORD dst_unused:UNUSED_PAD src0_sel:DWORD src1_sel:WORD_1
	v_fma_f16 v11, v28, v20, v3
	v_add_f16_e32 v3, v9, v11
	s_waitcnt lgkmcnt(0)
	v_fma_f16 v12, v3, -0.5, v13
	v_add_f16_e32 v3, v16, v21
	v_fma_f16 v33, v32, s6, v4
	v_fma_f16 v32, v32, s5, v4
	v_fma_f16 v23, v3, -0.5, v2
	v_mad_u64_u32 v[3:4], s[0:1], s2, v10, 0
	v_sub_f16_e32 v5, v16, v21
	v_fma_f16 v20, v5, s5, v12
	v_fma_f16 v12, v5, s6, v12
	v_mad_u64_u32 v[4:5], s[0:1], s3, v10, v[4:5]
	v_sub_f16_e32 v27, v9, v11
	v_add_f16_e32 v9, v9, v13
	v_add_f16_e32 v2, v2, v16
	;; [unrolled: 1-line block ×4, first 2 shown]
	v_mov_b32_e32 v2, s13
	v_add_co_u32_e32 v11, vcc, s12, v0
	v_addc_co_u32_e32 v13, vcc, v2, v1, vcc
	v_lshlrev_b64 v[0:1], 2, v[3:4]
	v_add_u32_e32 v4, 0x1d4, v10
	v_mad_u64_u32 v[2:3], s[0:1], s2, v4, 0
	v_add_u32_e32 v16, 0x3a8, v10
	v_pack_b32_f16 v9, v9, v5
	v_mad_u64_u32 v[3:4], s[0:1], s3, v4, v[3:4]
	v_mad_u64_u32 v[4:5], s[0:1], s2, v16, 0
	v_add_co_u32_e32 v0, vcc, v11, v0
	v_addc_co_u32_e32 v1, vcc, v13, v1, vcc
	global_store_dword v[0:1], v9, off
	v_lshlrev_b64 v[0:1], 2, v[2:3]
	v_mov_b32_e32 v2, v5
	v_mad_u64_u32 v[2:3], s[0:1], s3, v16, v[2:3]
	v_fma_f16 v28, v27, s6, v23
	v_fma_f16 v23, v27, s5, v23
	v_add_co_u32_e32 v0, vcc, v11, v0
	v_addc_co_u32_e32 v1, vcc, v13, v1, vcc
	v_pack_b32_f16 v3, v23, v12
	v_mov_b32_e32 v5, v2
	global_store_dword v[0:1], v3, off
	v_lshlrev_b64 v[0:1], 2, v[4:5]
	v_add_u32_e32 v4, 0x75, v10
	v_mad_u64_u32 v[2:3], s[0:1], s2, v4, 0
	v_add_u32_e32 v12, 0x249, v10
	v_add_co_u32_e32 v0, vcc, v11, v0
	v_mad_u64_u32 v[3:4], s[0:1], s3, v4, v[3:4]
	v_mad_u64_u32 v[4:5], s[0:1], s2, v12, 0
	v_addc_co_u32_e32 v1, vcc, v13, v1, vcc
	v_pack_b32_f16 v9, v28, v20
	global_store_dword v[0:1], v9, off
	v_lshlrev_b64 v[0:1], 2, v[2:3]
	v_mov_b32_e32 v2, v5
	v_mad_u64_u32 v[2:3], s[0:1], s3, v12, v[2:3]
	v_add_co_u32_e32 v0, vcc, v11, v0
	v_addc_co_u32_e32 v1, vcc, v13, v1, vcc
	v_pack_b32_f16 v3, v8, v6
	v_mov_b32_e32 v5, v2
	global_store_dword v[0:1], v3, off
	v_lshlrev_b64 v[0:1], 2, v[4:5]
	v_add_u32_e32 v4, 0x41d, v10
	v_mad_u64_u32 v[2:3], s[0:1], s2, v4, 0
	v_add_f16_e32 v15, v15, v29
	v_fma_f16 v29, v36, s6, v7
	v_mad_u64_u32 v[3:4], s[0:1], s3, v4, v[3:4]
	v_add_u32_e32 v4, 0xea, v10
	v_fma_f16 v7, v36, s5, v7
	v_lshrrev_b32_e32 v6, 2, v4
	s_mov_b32 s5, 0x46046047
	v_mul_hi_u32 v6, v6, s5
	v_add_co_u32_e32 v0, vcc, v11, v0
	v_addc_co_u32_e32 v1, vcc, v13, v1, vcc
	v_pack_b32_f16 v5, v32, v34
	global_store_dword v[0:1], v5, off
	v_lshlrev_b64 v[0:1], 2, v[2:3]
	v_lshrrev_b32_e32 v2, 5, v6
	v_mad_u32_u24 v6, v2, s4, v4
	v_mad_u64_u32 v[2:3], s[0:1], s2, v6, 0
	v_add_u32_e32 v9, 0x1d4, v6
	v_add_co_u32_e32 v0, vcc, v11, v0
	v_mad_u64_u32 v[3:4], s[0:1], s3, v6, v[3:4]
	v_mad_u64_u32 v[4:5], s[0:1], s2, v9, 0
	v_addc_co_u32_e32 v1, vcc, v13, v1, vcc
	v_pack_b32_f16 v8, v33, v31
	global_store_dword v[0:1], v8, off
	v_lshlrev_b64 v[0:1], 2, v[2:3]
	v_mov_b32_e32 v2, v5
	v_mad_u64_u32 v[2:3], s[0:1], s3, v9, v[2:3]
	v_add_co_u32_e32 v0, vcc, v11, v0
	v_addc_co_u32_e32 v1, vcc, v13, v1, vcc
	v_pack_b32_f16 v3, v17, v15
	v_mov_b32_e32 v5, v2
	global_store_dword v[0:1], v3, off
	v_lshlrev_b64 v[0:1], 2, v[4:5]
	v_add_u32_e32 v4, 0x3a8, v6
	v_add_u32_e32 v5, 0x15f, v10
	v_mad_u64_u32 v[2:3], s[0:1], s2, v4, 0
	v_lshrrev_b32_e32 v6, 2, v5
	v_mul_hi_u32 v6, v6, s5
	v_mad_u64_u32 v[3:4], s[0:1], s3, v4, v[3:4]
	v_add_co_u32_e32 v0, vcc, v11, v0
	v_lshrrev_b32_e32 v4, 5, v6
	v_mad_u32_u24 v6, v4, s4, v5
	v_mad_u64_u32 v[4:5], s[0:1], s2, v6, 0
	v_addc_co_u32_e32 v1, vcc, v13, v1, vcc
	v_pack_b32_f16 v7, v7, v30
	global_store_dword v[0:1], v7, off
	v_lshlrev_b64 v[0:1], 2, v[2:3]
	v_mov_b32_e32 v2, v5
	v_mad_u64_u32 v[2:3], s[0:1], s3, v6, v[2:3]
	v_add_co_u32_e32 v0, vcc, v11, v0
	v_addc_co_u32_e32 v1, vcc, v13, v1, vcc
	v_pack_b32_f16 v3, v29, v26
	v_mov_b32_e32 v5, v2
	global_store_dword v[0:1], v3, off
	v_lshlrev_b64 v[0:1], 2, v[4:5]
	v_add_u32_e32 v4, 0x1d4, v6
	v_mad_u64_u32 v[2:3], s[0:1], s2, v4, 0
	v_add_u32_e32 v6, 0x3a8, v6
	v_add_co_u32_e32 v0, vcc, v11, v0
	v_mad_u64_u32 v[3:4], s[0:1], s3, v4, v[3:4]
	v_mad_u64_u32 v[4:5], s[0:1], s2, v6, 0
	v_addc_co_u32_e32 v1, vcc, v13, v1, vcc
	v_pack_b32_f16 v7, v25, v14
	global_store_dword v[0:1], v7, off
	v_lshlrev_b64 v[0:1], 2, v[2:3]
	v_mov_b32_e32 v2, v5
	v_mad_u64_u32 v[2:3], s[0:1], s3, v6, v[2:3]
	v_add_co_u32_e32 v0, vcc, v11, v0
	v_addc_co_u32_e32 v1, vcc, v13, v1, vcc
	v_pack_b32_f16 v3, v18, v19
	v_mov_b32_e32 v5, v2
	global_store_dword v[0:1], v3, off
	v_lshlrev_b64 v[0:1], 2, v[4:5]
	v_pack_b32_f16 v2, v24, v22
	v_add_co_u32_e32 v0, vcc, v11, v0
	v_addc_co_u32_e32 v1, vcc, v13, v1, vcc
	global_store_dword v[0:1], v2, off
.LBB0_23:
	s_endpgm
	.section	.rodata,"a",@progbits
	.p2align	6, 0x0
	.amdhsa_kernel fft_rtc_fwd_len1404_factors_2_2_3_13_3_3_wgs_117_tpt_117_halfLds_half_ip_CI_sbrr_dirReg
		.amdhsa_group_segment_fixed_size 0
		.amdhsa_private_segment_fixed_size 0
		.amdhsa_kernarg_size 88
		.amdhsa_user_sgpr_count 6
		.amdhsa_user_sgpr_private_segment_buffer 1
		.amdhsa_user_sgpr_dispatch_ptr 0
		.amdhsa_user_sgpr_queue_ptr 0
		.amdhsa_user_sgpr_kernarg_segment_ptr 1
		.amdhsa_user_sgpr_dispatch_id 0
		.amdhsa_user_sgpr_flat_scratch_init 0
		.amdhsa_user_sgpr_private_segment_size 0
		.amdhsa_uses_dynamic_stack 0
		.amdhsa_system_sgpr_private_segment_wavefront_offset 0
		.amdhsa_system_sgpr_workgroup_id_x 1
		.amdhsa_system_sgpr_workgroup_id_y 0
		.amdhsa_system_sgpr_workgroup_id_z 0
		.amdhsa_system_sgpr_workgroup_info 0
		.amdhsa_system_vgpr_workitem_id 0
		.amdhsa_next_free_vgpr 84
		.amdhsa_next_free_sgpr 24
		.amdhsa_reserve_vcc 1
		.amdhsa_reserve_flat_scratch 0
		.amdhsa_float_round_mode_32 0
		.amdhsa_float_round_mode_16_64 0
		.amdhsa_float_denorm_mode_32 3
		.amdhsa_float_denorm_mode_16_64 3
		.amdhsa_dx10_clamp 1
		.amdhsa_ieee_mode 1
		.amdhsa_fp16_overflow 0
		.amdhsa_exception_fp_ieee_invalid_op 0
		.amdhsa_exception_fp_denorm_src 0
		.amdhsa_exception_fp_ieee_div_zero 0
		.amdhsa_exception_fp_ieee_overflow 0
		.amdhsa_exception_fp_ieee_underflow 0
		.amdhsa_exception_fp_ieee_inexact 0
		.amdhsa_exception_int_div_zero 0
	.end_amdhsa_kernel
	.text
.Lfunc_end0:
	.size	fft_rtc_fwd_len1404_factors_2_2_3_13_3_3_wgs_117_tpt_117_halfLds_half_ip_CI_sbrr_dirReg, .Lfunc_end0-fft_rtc_fwd_len1404_factors_2_2_3_13_3_3_wgs_117_tpt_117_halfLds_half_ip_CI_sbrr_dirReg
                                        ; -- End function
	.section	.AMDGPU.csdata,"",@progbits
; Kernel info:
; codeLenInByte = 11188
; NumSgprs: 28
; NumVgprs: 84
; ScratchSize: 0
; MemoryBound: 0
; FloatMode: 240
; IeeeMode: 1
; LDSByteSize: 0 bytes/workgroup (compile time only)
; SGPRBlocks: 3
; VGPRBlocks: 20
; NumSGPRsForWavesPerEU: 28
; NumVGPRsForWavesPerEU: 84
; Occupancy: 3
; WaveLimiterHint : 1
; COMPUTE_PGM_RSRC2:SCRATCH_EN: 0
; COMPUTE_PGM_RSRC2:USER_SGPR: 6
; COMPUTE_PGM_RSRC2:TRAP_HANDLER: 0
; COMPUTE_PGM_RSRC2:TGID_X_EN: 1
; COMPUTE_PGM_RSRC2:TGID_Y_EN: 0
; COMPUTE_PGM_RSRC2:TGID_Z_EN: 0
; COMPUTE_PGM_RSRC2:TIDIG_COMP_CNT: 0
	.type	__hip_cuid_88e31d1c2f301f2c,@object ; @__hip_cuid_88e31d1c2f301f2c
	.section	.bss,"aw",@nobits
	.globl	__hip_cuid_88e31d1c2f301f2c
__hip_cuid_88e31d1c2f301f2c:
	.byte	0                               ; 0x0
	.size	__hip_cuid_88e31d1c2f301f2c, 1

	.ident	"AMD clang version 19.0.0git (https://github.com/RadeonOpenCompute/llvm-project roc-6.4.0 25133 c7fe45cf4b819c5991fe208aaa96edf142730f1d)"
	.section	".note.GNU-stack","",@progbits
	.addrsig
	.addrsig_sym __hip_cuid_88e31d1c2f301f2c
	.amdgpu_metadata
---
amdhsa.kernels:
  - .args:
      - .actual_access:  read_only
        .address_space:  global
        .offset:         0
        .size:           8
        .value_kind:     global_buffer
      - .offset:         8
        .size:           8
        .value_kind:     by_value
      - .actual_access:  read_only
        .address_space:  global
        .offset:         16
        .size:           8
        .value_kind:     global_buffer
      - .actual_access:  read_only
        .address_space:  global
        .offset:         24
        .size:           8
        .value_kind:     global_buffer
      - .offset:         32
        .size:           8
        .value_kind:     by_value
      - .actual_access:  read_only
        .address_space:  global
        .offset:         40
        .size:           8
        .value_kind:     global_buffer
      - .actual_access:  read_only
        .address_space:  global
        .offset:         48
        .size:           8
        .value_kind:     global_buffer
      - .offset:         56
        .size:           4
        .value_kind:     by_value
      - .actual_access:  read_only
        .address_space:  global
        .offset:         64
        .size:           8
        .value_kind:     global_buffer
      - .actual_access:  read_only
        .address_space:  global
        .offset:         72
        .size:           8
        .value_kind:     global_buffer
      - .address_space:  global
        .offset:         80
        .size:           8
        .value_kind:     global_buffer
    .group_segment_fixed_size: 0
    .kernarg_segment_align: 8
    .kernarg_segment_size: 88
    .language:       OpenCL C
    .language_version:
      - 2
      - 0
    .max_flat_workgroup_size: 117
    .name:           fft_rtc_fwd_len1404_factors_2_2_3_13_3_3_wgs_117_tpt_117_halfLds_half_ip_CI_sbrr_dirReg
    .private_segment_fixed_size: 0
    .sgpr_count:     28
    .sgpr_spill_count: 0
    .symbol:         fft_rtc_fwd_len1404_factors_2_2_3_13_3_3_wgs_117_tpt_117_halfLds_half_ip_CI_sbrr_dirReg.kd
    .uniform_work_group_size: 1
    .uses_dynamic_stack: false
    .vgpr_count:     84
    .vgpr_spill_count: 0
    .wavefront_size: 64
amdhsa.target:   amdgcn-amd-amdhsa--gfx906
amdhsa.version:
  - 1
  - 2
...

	.end_amdgpu_metadata
